;; amdgpu-corpus repo=ROCm/rocFFT kind=compiled arch=gfx1030 opt=O3
	.text
	.amdgcn_target "amdgcn-amd-amdhsa--gfx1030"
	.amdhsa_code_object_version 6
	.protected	fft_rtc_fwd_len52_factors_13_4_wgs_208_tpt_13_dp_op_CI_CI_sbcc_twdbase6_3step_dirReg_intrinsicReadWrite ; -- Begin function fft_rtc_fwd_len52_factors_13_4_wgs_208_tpt_13_dp_op_CI_CI_sbcc_twdbase6_3step_dirReg_intrinsicReadWrite
	.globl	fft_rtc_fwd_len52_factors_13_4_wgs_208_tpt_13_dp_op_CI_CI_sbcc_twdbase6_3step_dirReg_intrinsicReadWrite
	.p2align	8
	.type	fft_rtc_fwd_len52_factors_13_4_wgs_208_tpt_13_dp_op_CI_CI_sbcc_twdbase6_3step_dirReg_intrinsicReadWrite,@function
fft_rtc_fwd_len52_factors_13_4_wgs_208_tpt_13_dp_op_CI_CI_sbcc_twdbase6_3step_dirReg_intrinsicReadWrite: ; @fft_rtc_fwd_len52_factors_13_4_wgs_208_tpt_13_dp_op_CI_CI_sbcc_twdbase6_3step_dirReg_intrinsicReadWrite
; %bb.0:
	s_clause 0x1
	s_load_dwordx8 s[8:15], s[4:5], 0x8
	s_load_dwordx2 s[0:1], s[4:5], 0x28
	s_mov_b32 s2, exec_lo
	v_cmpx_gt_u32_e32 0xc0, v0
	s_cbranch_execz .LBB0_2
; %bb.1:
	v_lshlrev_b32_e32 v5, 4, v0
	s_waitcnt lgkmcnt(0)
	global_load_dwordx4 v[1:4], v5, s[8:9]
	v_add3_u32 v5, 0, v5, 0x3400
	s_waitcnt vmcnt(0)
	ds_write2_b64 v5, v[1:2], v[3:4] offset1:1
.LBB0_2:
	s_or_b32 exec_lo, exec_lo, s2
	s_waitcnt lgkmcnt(0)
	s_load_dwordx2 s[28:29], s[12:13], 0x8
	s_mov_b32 s7, 0
	s_waitcnt lgkmcnt(0)
	s_add_u32 s2, s28, -1
	s_addc_u32 s3, s29, -1
	s_lshr_b64 s[2:3], s[2:3], 4
	s_add_u32 s30, s2, 1
	s_addc_u32 s31, s3, 0
	v_cmp_lt_u64_e64 s2, s[6:7], s[30:31]
	s_and_b32 vcc_lo, exec_lo, s2
	s_mov_b64 s[2:3], 0
	s_cbranch_vccnz .LBB0_4
; %bb.3:
	v_cvt_f32_u32_e32 v1, s30
	s_sub_i32 s3, 0, s30
	v_rcp_iflag_f32_e32 v1, v1
	v_mul_f32_e32 v1, 0x4f7ffffe, v1
	v_cvt_u32_f32_e32 v1, v1
	v_readfirstlane_b32 s2, v1
	s_mul_i32 s3, s3, s2
	s_mul_hi_u32 s3, s2, s3
	s_add_i32 s2, s2, s3
	s_mul_hi_u32 s2, s6, s2
	s_mul_i32 s3, s2, s30
	s_add_i32 s8, s2, 1
	s_sub_i32 s3, s6, s3
	s_sub_i32 s9, s3, s30
	s_cmp_ge_u32 s3, s30
	s_cselect_b32 s2, s8, s2
	s_cselect_b32 s3, s9, s3
	s_add_i32 s8, s2, 1
	s_cmp_ge_u32 s3, s30
	s_mov_b32 s3, s7
	s_cselect_b32 s2, s8, s2
.LBB0_4:
	s_load_dwordx4 s[24:27], s[14:15], 0x0
	s_load_dwordx4 s[16:19], s[0:1], 0x0
	s_mul_i32 s8, s2, s31
	s_mul_hi_u32 s9, s2, s30
	s_waitcnt lgkmcnt(0)
	s_mul_i32 s17, s2, s30
	s_add_i32 s9, s9, s8
	s_sub_u32 s34, s6, s17
	s_subb_u32 s35, 0, s9
	s_clause 0x1
	s_load_dwordx4 s[20:23], s[4:5], 0x60
	s_load_dwordx2 s[8:9], s[4:5], 0x0
	v_alignbit_b32 v1, s35, s34, 28
	s_lshl_b64 s[4:5], s[34:35], 4
	v_cmp_lt_u64_e64 s17, s[10:11], 3
	s_and_b32 vcc_lo, exec_lo, s17
	v_mul_lo_u32 v2, s26, v1
	v_mul_lo_u32 v1, s18, v1
	s_mul_hi_u32 s25, s26, s4
	s_mul_hi_u32 s34, s18, s4
	s_mul_i32 s27, s27, s4
	s_mul_i32 s33, s26, s4
	;; [unrolled: 1-line block ×3, first 2 shown]
	v_add_nc_u32_e32 v2, s25, v2
	v_add_nc_u32_e32 v3, s34, v1
	s_mul_i32 s25, s18, s4
	v_mov_b32_e32 v1, s33
	v_mov_b32_e32 v70, s25
	v_add_nc_u32_e32 v2, s27, v2
	v_add_nc_u32_e32 v3, s19, v3
	s_cbranch_vccnz .LBB0_13
; %bb.5:
	s_add_u32 s34, s0, 16
	s_addc_u32 s35, s1, 0
	s_add_u32 s36, s14, 16
	s_addc_u32 s37, s15, 0
	;; [unrolled: 2-line block ×3, first 2 shown]
	s_mov_b64 s[38:39], 2
	s_mov_b32 s40, 0
	s_branch .LBB0_7
.LBB0_6:                                ;   in Loop: Header=BB0_7 Depth=1
	s_load_dwordx2 s[46:47], s[36:37], 0x0
	s_load_dwordx2 s[48:49], s[34:35], 0x0
	s_mul_i32 s17, s42, s31
	s_mul_hi_u32 s19, s42, s30
	s_mul_i32 s27, s44, s43
	s_mul_hi_u32 s31, s44, s42
	s_mul_i32 s25, s43, s30
	s_mul_i32 s33, s45, s42
	s_add_i32 s17, s19, s17
	s_add_i32 s19, s31, s27
	s_mul_i32 s41, s44, s42
	s_add_i32 s31, s17, s25
	s_add_i32 s19, s19, s33
	s_sub_u32 s2, s2, s41
	s_subb_u32 s3, s3, s19
	s_mul_i32 s30, s42, s30
	s_waitcnt lgkmcnt(0)
	s_mul_i32 s17, s46, s3
	s_mul_hi_u32 s19, s46, s2
	s_mul_i32 s3, s48, s3
	s_mul_hi_u32 s33, s48, s2
	s_mul_i32 s25, s47, s2
	s_add_i32 s17, s19, s17
	s_add_i32 s3, s33, s3
	s_mul_i32 s19, s49, s2
	s_mul_i32 s27, s46, s2
	s_add_i32 s17, s17, s25
	s_add_i32 s3, s3, s19
	v_add_co_u32 v1, vcc_lo, s27, v1
	s_add_u32 s38, s38, 1
	s_mul_i32 s2, s48, s2
	s_addc_u32 s39, s39, 0
	v_add_co_ci_u32_e32 v2, vcc_lo, s17, v2, vcc_lo
	v_add_co_u32 v70, vcc_lo, s2, v70
	v_cmp_ge_u64_e64 s2, s[38:39], s[10:11]
	s_add_u32 s34, s34, 8
	s_addc_u32 s35, s35, 0
	v_add_co_ci_u32_e32 v3, vcc_lo, s3, v3, vcc_lo
	s_add_u32 s36, s36, 8
	s_addc_u32 s37, s37, 0
	s_add_u32 s12, s12, 8
	s_addc_u32 s13, s13, 0
	s_and_b32 vcc_lo, exec_lo, s2
	s_mov_b64 s[2:3], s[44:45]
	s_cbranch_vccnz .LBB0_11
.LBB0_7:                                ; =>This Inner Loop Header: Depth=1
	s_load_dwordx2 s[42:43], s[12:13], 0x0
	s_mov_b32 s17, -1
	s_waitcnt lgkmcnt(0)
	s_or_b64 s[44:45], s[2:3], s[42:43]
	s_mov_b32 s41, s45
                                        ; implicit-def: $sgpr44_sgpr45
	s_cmp_lg_u64 s[40:41], 0
	s_cbranch_scc0 .LBB0_9
; %bb.8:                                ;   in Loop: Header=BB0_7 Depth=1
	v_cvt_f32_u32_e32 v4, s42
	v_cvt_f32_u32_e32 v5, s43
	s_sub_u32 s25, 0, s42
	s_subb_u32 s27, 0, s43
	v_fmac_f32_e32 v4, 0x4f800000, v5
	v_rcp_f32_e32 v4, v4
	v_mul_f32_e32 v4, 0x5f7ffffc, v4
	v_mul_f32_e32 v5, 0x2f800000, v4
	v_trunc_f32_e32 v5, v5
	v_fmac_f32_e32 v4, 0xcf800000, v5
	v_cvt_u32_f32_e32 v5, v5
	v_cvt_u32_f32_e32 v4, v4
	v_readfirstlane_b32 s17, v5
	v_readfirstlane_b32 s19, v4
	s_mul_i32 s33, s25, s17
	s_mul_hi_u32 s44, s25, s19
	s_mul_i32 s41, s27, s19
	s_add_i32 s33, s44, s33
	s_mul_i32 s45, s25, s19
	s_add_i32 s33, s33, s41
	s_mul_hi_u32 s44, s19, s45
	s_mul_hi_u32 s46, s17, s45
	s_mul_i32 s41, s17, s45
	s_mul_hi_u32 s45, s19, s33
	s_mul_i32 s19, s19, s33
	s_mul_hi_u32 s47, s17, s33
	s_add_u32 s19, s44, s19
	s_addc_u32 s44, 0, s45
	s_add_u32 s19, s19, s41
	s_mul_i32 s33, s17, s33
	s_addc_u32 s19, s44, s46
	s_addc_u32 s41, s47, 0
	s_add_u32 s19, s19, s33
	s_addc_u32 s33, 0, s41
	v_add_co_u32 v4, s19, v4, s19
	s_cmp_lg_u32 s19, 0
	s_addc_u32 s17, s17, s33
	v_readfirstlane_b32 s19, v4
	s_mul_i32 s33, s25, s17
	s_mul_hi_u32 s41, s25, s19
	s_mul_i32 s27, s27, s19
	s_add_i32 s33, s41, s33
	s_mul_i32 s25, s25, s19
	s_add_i32 s33, s33, s27
	s_mul_hi_u32 s41, s17, s25
	s_mul_i32 s44, s17, s25
	s_mul_hi_u32 s25, s19, s25
	s_mul_hi_u32 s45, s19, s33
	s_mul_i32 s19, s19, s33
	s_mul_hi_u32 s27, s17, s33
	s_add_u32 s19, s25, s19
	s_addc_u32 s25, 0, s45
	s_add_u32 s19, s19, s44
	s_mul_i32 s33, s17, s33
	s_addc_u32 s19, s25, s41
	s_addc_u32 s25, s27, 0
	s_add_u32 s19, s19, s33
	s_addc_u32 s25, 0, s25
	v_add_co_u32 v4, s19, v4, s19
	s_cmp_lg_u32 s19, 0
	s_addc_u32 s17, s17, s25
	v_readfirstlane_b32 s19, v4
	s_mul_i32 s27, s2, s17
	s_mul_hi_u32 s25, s2, s17
	s_mul_hi_u32 s33, s3, s17
	s_mul_i32 s17, s3, s17
	s_mul_hi_u32 s41, s2, s19
	s_mul_hi_u32 s44, s3, s19
	s_mul_i32 s19, s3, s19
	s_add_u32 s27, s41, s27
	s_addc_u32 s25, 0, s25
	s_add_u32 s19, s27, s19
	s_addc_u32 s19, s25, s44
	s_addc_u32 s25, s33, 0
	s_add_u32 s19, s19, s17
	s_addc_u32 s25, 0, s25
	s_mul_hi_u32 s17, s42, s19
	s_mul_i32 s33, s42, s25
	s_mul_i32 s41, s42, s19
	s_add_i32 s17, s17, s33
	v_sub_co_u32 v4, s33, s2, s41
	s_mul_i32 s27, s43, s19
	s_add_i32 s17, s17, s27
	v_sub_co_u32 v5, s41, v4, s42
	s_sub_i32 s27, s3, s17
	s_cmp_lg_u32 s33, 0
	s_subb_u32 s27, s27, s43
	s_cmp_lg_u32 s41, 0
	v_readfirstlane_b32 s41, v5
	s_subb_u32 s27, s27, 0
	s_cmp_ge_u32 s27, s43
	s_cselect_b32 s44, -1, 0
	s_cmp_ge_u32 s41, s42
	s_cselect_b32 s41, -1, 0
	s_cmp_eq_u32 s27, s43
	s_cselect_b32 s27, s41, s44
	s_add_u32 s41, s19, 1
	s_addc_u32 s44, s25, 0
	s_add_u32 s45, s19, 2
	s_addc_u32 s46, s25, 0
	s_cmp_lg_u32 s27, 0
	s_cselect_b32 s27, s45, s41
	s_cselect_b32 s41, s46, s44
	s_cmp_lg_u32 s33, 0
	v_readfirstlane_b32 s33, v4
	s_subb_u32 s17, s3, s17
	s_cmp_ge_u32 s17, s43
	s_cselect_b32 s44, -1, 0
	s_cmp_ge_u32 s33, s42
	s_cselect_b32 s33, -1, 0
	s_cmp_eq_u32 s17, s43
	s_cselect_b32 s17, s33, s44
	s_cmp_lg_u32 s17, 0
	s_mov_b32 s17, 0
	s_cselect_b32 s45, s41, s25
	s_cselect_b32 s44, s27, s19
.LBB0_9:                                ;   in Loop: Header=BB0_7 Depth=1
	s_andn2_b32 vcc_lo, exec_lo, s17
	s_cbranch_vccnz .LBB0_6
; %bb.10:                               ;   in Loop: Header=BB0_7 Depth=1
	v_cvt_f32_u32_e32 v4, s42
	s_sub_i32 s19, 0, s42
	s_mov_b32 s45, s40
	v_rcp_iflag_f32_e32 v4, v4
	v_mul_f32_e32 v4, 0x4f7ffffe, v4
	v_cvt_u32_f32_e32 v4, v4
	v_readfirstlane_b32 s17, v4
	s_mul_i32 s19, s19, s17
	s_mul_hi_u32 s19, s17, s19
	s_add_i32 s17, s17, s19
	s_mul_hi_u32 s17, s2, s17
	s_mul_i32 s19, s17, s42
	s_add_i32 s25, s17, 1
	s_sub_i32 s19, s2, s19
	s_sub_i32 s27, s19, s42
	s_cmp_ge_u32 s19, s42
	s_cselect_b32 s17, s25, s17
	s_cselect_b32 s19, s27, s19
	s_add_i32 s25, s17, 1
	s_cmp_ge_u32 s19, s42
	s_cselect_b32 s44, s25, s17
	s_branch .LBB0_6
.LBB0_11:
	v_cmp_lt_u64_e64 s2, s[6:7], s[30:31]
	s_and_b32 vcc_lo, exec_lo, s2
	s_mov_b64 s[2:3], 0
	s_cbranch_vccnz .LBB0_13
; %bb.12:
	v_cvt_f32_u32_e32 v2, s30
	s_sub_i32 s3, 0, s30
	v_rcp_iflag_f32_e32 v2, v2
	v_mul_f32_e32 v2, 0x4f7ffffe, v2
	v_cvt_u32_f32_e32 v2, v2
	v_readfirstlane_b32 s2, v2
	s_mul_i32 s3, s3, s2
	s_mul_hi_u32 s3, s2, s3
	s_add_i32 s2, s2, s3
	s_mul_hi_u32 s2, s6, s2
	s_mul_i32 s3, s2, s30
	s_sub_i32 s3, s6, s3
	s_add_i32 s6, s2, 1
	s_sub_i32 s7, s3, s30
	s_cmp_ge_u32 s3, s30
	s_cselect_b32 s2, s6, s2
	s_cselect_b32 s3, s7, s3
	s_add_i32 s6, s2, 1
	s_cmp_ge_u32 s3, s30
	s_cselect_b32 s2, s6, s2
.LBB0_13:
	v_and_b32_e32 v71, 15, v0
	s_lshl_b64 s[6:7], s[10:11], 3
	v_mov_b32_e32 v54, s5
	s_add_u32 s12, s14, s6
	s_addc_u32 s13, s15, s7
	v_or_b32_e32 v53, s4, v71
	s_add_u32 s10, s0, s6
	s_addc_u32 s11, s1, s7
	s_add_u32 s0, s4, 16
	s_addc_u32 s1, s5, 0
	v_cmp_gt_u64_e32 vcc_lo, s[28:29], v[53:54]
	s_load_dword s6, s[12:13], 0x0
	v_cmp_le_u64_e64 s3, s[0:1], s[28:29]
	v_cmp_gt_u32_e64 s1, 64, v0
	v_cmp_lt_u32_e64 s0, 63, v0
	v_lshrrev_b32_e32 v72, 4, v0
	v_cndmask_b32_e64 v3, 0, 1, vcc_lo
	v_mul_lo_u32 v5, s26, v71
	v_cndmask_b32_e64 v2, 0, 1, s1
	s_or_b32 s0, s0, s3
	v_mul_lo_u32 v4, s24, v72
	v_add_nc_u32_e32 v6, 8, v72
	s_mov_b32 s7, 0x31014000
	v_cndmask_b32_e64 v2, v3, v2, s0
	v_add_nc_u32_e32 v3, 4, v72
	s_waitcnt lgkmcnt(0)
	s_mov_b32 s4, s20
	s_mov_b32 s5, s21
	v_add_nc_u32_e32 v9, 28, v72
	v_and_b32_e32 v2, 1, v2
	v_mul_lo_u32 v3, s24, v3
	v_add_lshl_u32 v4, v5, v4, 4
	s_mul_i32 s6, s6, s2
	v_mul_lo_u32 v9, s24, v9
	v_cmp_eq_u32_e64 s0, 1, v2
	v_add_nc_u32_e32 v1, s6, v1
	s_mov_b32 s6, -2
	v_add_nc_u32_e32 v17, 44, v72
	v_add_lshl_u32 v3, v5, v3, 4
	v_cndmask_b32_e64 v2, -1, v4, s0
	v_mul_lo_u32 v4, s24, v6
	v_lshlrev_b32_e32 v1, 4, v1
	v_add_nc_u32_e32 v6, 12, v72
	v_cndmask_b32_e64 v7, -1, v3, s0
	v_add_nc_u32_e32 v3, 20, v72
	v_or_b32_e32 v18, 48, v72
	v_readfirstlane_b32 s12, v1
	v_or_b32_e32 v1, 16, v72
	v_mul_lo_u32 v6, s24, v6
	v_add_lshl_u32 v8, v5, v4, 4
	v_add_nc_u32_e32 v4, 24, v72
	v_mul_lo_u32 v11, s24, v3
	v_mul_lo_u32 v10, s24, v1
	v_add_lshl_u32 v9, v5, v9, 4
	v_mul_lo_u32 v17, s24, v17
	v_mul_lo_u32 v12, s24, v4
	v_add_lshl_u32 v6, v5, v6, 4
	s_clause 0x1
	buffer_load_dwordx4 v[1:4], v2, s[4:7], s12 offen
	buffer_load_dwordx4 v[13:16], v7, s[4:7], s12 offen
	v_cndmask_b32_e64 v7, -1, v8, s0
	v_mul_lo_u32 v18, s24, v18
	v_add_lshl_u32 v8, v5, v10, 4
	v_add_lshl_u32 v10, v5, v11, 4
	v_cndmask_b32_e64 v6, -1, v6, s0
	v_add_lshl_u32 v11, v5, v12, 4
	s_clause 0x1
	buffer_load_dwordx4 v[25:28], v7, s[4:7], s12 offen
	buffer_load_dwordx4 v[29:32], v6, s[4:7], s12 offen
	v_cndmask_b32_e64 v7, -1, v10, s0
	v_or_b32_e32 v10, 32, v72
	v_cndmask_b32_e64 v6, -1, v8, s0
	v_cndmask_b32_e64 v8, -1, v11, s0
	v_add_nc_u32_e32 v11, 36, v72
	v_add_nc_u32_e32 v12, 40, v72
	v_mul_lo_u32 v10, s24, v10
	v_cndmask_b32_e64 v9, -1, v9, s0
	s_clause 0x3
	buffer_load_dwordx4 v[33:36], v6, s[4:7], s12 offen
	buffer_load_dwordx4 v[37:40], v7, s[4:7], s12 offen
	;; [unrolled: 1-line block ×4, first 2 shown]
	v_mul_lo_u32 v11, s24, v11
	v_mul_lo_u32 v12, s24, v12
	v_add_lshl_u32 v9, v5, v17, 4
	v_add_lshl_u32 v6, v5, v10, 4
	v_cndmask_b32_e64 v9, -1, v9, s0
	v_add_lshl_u32 v7, v5, v11, 4
	v_add_lshl_u32 v8, v5, v12, 4
	;; [unrolled: 1-line block ×3, first 2 shown]
	v_cndmask_b32_e64 v6, -1, v6, s0
	v_cndmask_b32_e64 v7, -1, v7, s0
	;; [unrolled: 1-line block ×4, first 2 shown]
	s_clause 0x4
	buffer_load_dwordx4 v[49:52], v6, s[4:7], s12 offen
	buffer_load_dwordx4 v[21:24], v7, s[4:7], s12 offen
	;; [unrolled: 1-line block ×5, first 2 shown]
	s_load_dwordx2 s[4:5], s[10:11], 0x0
	s_waitcnt lgkmcnt(0)
	s_and_saveexec_b32 s5, s1
	s_cbranch_execz .LBB0_15
; %bb.14:
	s_waitcnt vmcnt(11)
	v_add_f64 v[54:55], v[3:4], v[15:16]
	v_add_f64 v[56:57], v[1:2], v[13:14]
	s_waitcnt vmcnt(0)
	v_add_f64 v[73:74], v[15:16], v[7:8]
	v_add_f64 v[15:16], v[15:16], -v[7:8]
	s_mov_b32 s0, 0x93053d00
	s_mov_b32 s10, 0xe00740e9
	;; [unrolled: 1-line block ×18, first 2 shown]
	v_add_f64 v[54:55], v[54:55], v[27:28]
	v_add_f64 v[56:57], v[56:57], v[25:26]
	s_mov_b32 s29, 0x3fe5384d
	s_mov_b32 s31, 0xbfe5384d
	;; [unrolled: 1-line block ×12, first 2 shown]
	v_add_f64 v[64:65], v[27:28], v[11:12]
	v_add_f64 v[62:63], v[25:26], -v[9:10]
	v_add_f64 v[25:26], v[25:26], v[9:10]
	v_add_f64 v[27:28], v[27:28], -v[11:12]
	v_add_f64 v[75:76], v[13:14], -v[5:6]
	v_add_f64 v[13:14], v[13:14], v[5:6]
	v_mul_f64 v[77:78], v[73:74], s[40:41]
	v_mul_f64 v[79:80], v[15:16], s[42:43]
	v_add_f64 v[54:55], v[54:55], v[31:32]
	v_add_f64 v[56:57], v[56:57], v[29:30]
	v_mul_f64 v[81:82], v[73:74], s[46:47]
	v_mul_f64 v[83:84], v[15:16], s[50:51]
	s_mov_b32 s15, 0x3fddbe06
	s_mov_b32 s37, 0x3fea55e2
	;; [unrolled: 1-line block ×6, first 2 shown]
	v_mul_f64 v[103:104], v[64:65], s[10:11]
	v_fma_f64 v[93:94], v[75:76], s[44:45], v[77:78]
	v_fma_f64 v[95:96], v[13:14], s[40:41], v[79:80]
	v_add_f64 v[54:55], v[54:55], v[35:36]
	v_add_f64 v[56:57], v[56:57], v[33:34]
	v_fma_f64 v[77:78], v[75:76], s[42:43], v[77:78]
	v_fma_f64 v[79:80], v[13:14], s[40:41], -v[79:80]
	v_fma_f64 v[97:98], v[75:76], s[48:49], v[81:82]
	v_fma_f64 v[99:100], v[13:14], s[46:47], v[83:84]
	;; [unrolled: 1-line block ×3, first 2 shown]
	v_fma_f64 v[83:84], v[13:14], s[46:47], -v[83:84]
	v_add_f64 v[93:94], v[3:4], v[93:94]
	v_add_f64 v[95:96], v[1:2], v[95:96]
	v_add_f64 v[54:55], v[54:55], v[39:40]
	v_add_f64 v[56:57], v[56:57], v[37:38]
	v_add_f64 v[77:78], v[3:4], v[77:78]
	v_add_f64 v[79:80], v[1:2], v[79:80]
	v_add_f64 v[97:98], v[3:4], v[97:98]
	v_add_f64 v[99:100], v[1:2], v[99:100]
	v_add_f64 v[81:82], v[3:4], v[81:82]
	v_add_f64 v[83:84], v[1:2], v[83:84]
	v_add_f64 v[54:55], v[54:55], v[43:44]
	v_add_f64 v[56:57], v[56:57], v[41:42]
	v_add_f64 v[58:59], v[54:55], v[47:48]
	v_add_f64 v[60:61], v[56:57], v[45:46]
	v_add_f64 v[56:57], v[43:44], v[47:48]
	v_add_f64 v[54:55], v[41:42], -v[45:46]
	v_add_f64 v[41:42], v[41:42], v[45:46]
	v_add_f64 v[43:44], v[43:44], -v[47:48]
	v_add_f64 v[47:48], v[39:40], v[51:52]
	;; [unrolled: 2-line block ×4, first 2 shown]
	v_add_f64 v[68:69], v[60:61], v[49:50]
	v_add_f64 v[51:52], v[35:36], v[23:24]
	v_add_f64 v[49:50], v[33:34], -v[21:22]
	v_add_f64 v[33:34], v[33:34], v[21:22]
	v_add_f64 v[35:36], v[35:36], -v[23:24]
	;; [unrolled: 2-line block ×4, first 2 shown]
	v_mul_f64 v[113:114], v[47:48], s[40:41]
	v_mul_f64 v[115:116], v[39:40], s[42:43]
	v_add_f64 v[23:24], v[66:67], v[23:24]
	v_add_f64 v[21:22], v[68:69], v[21:22]
	v_mul_f64 v[66:67], v[73:74], s[24:25]
	v_mul_f64 v[68:69], v[15:16], s[30:31]
	v_add_f64 v[19:20], v[23:24], v[19:20]
	v_add_f64 v[17:18], v[21:22], v[17:18]
	v_mul_f64 v[21:22], v[73:74], s[0:1]
	v_mul_f64 v[23:24], v[15:16], s[26:27]
	v_fma_f64 v[89:90], v[75:76], s[28:29], v[66:67]
	v_fma_f64 v[91:92], v[13:14], s[24:25], v[68:69]
	;; [unrolled: 1-line block ×3, first 2 shown]
	v_fma_f64 v[68:69], v[13:14], s[24:25], -v[68:69]
	v_add_f64 v[11:12], v[19:20], v[11:12]
	v_add_f64 v[9:10], v[17:18], v[9:10]
	v_mul_f64 v[17:18], v[73:74], s[34:35]
	v_mul_f64 v[19:20], v[15:16], s[38:39]
	v_mul_f64 v[73:74], v[73:74], s[10:11]
	v_mul_f64 v[15:16], v[15:16], s[20:21]
	v_fma_f64 v[85:86], v[75:76], s[12:13], v[21:22]
	v_fma_f64 v[87:88], v[13:14], s[0:1], v[23:24]
	;; [unrolled: 1-line block ×3, first 2 shown]
	v_fma_f64 v[23:24], v[13:14], s[0:1], -v[23:24]
	v_add_f64 v[91:92], v[1:2], v[91:92]
	v_add_f64 v[109:110], v[3:4], v[66:67]
	;; [unrolled: 1-line block ×6, first 2 shown]
	v_fma_f64 v[9:10], v[75:76], s[36:37], v[17:18]
	v_fma_f64 v[11:12], v[13:14], s[34:35], v[19:20]
	;; [unrolled: 1-line block ×3, first 2 shown]
	v_fma_f64 v[19:20], v[13:14], s[34:35], -v[19:20]
	v_fma_f64 v[101:102], v[75:76], s[14:15], v[73:74]
	v_fma_f64 v[73:74], v[75:76], s[20:21], v[73:74]
	;; [unrolled: 1-line block ×3, first 2 shown]
	v_fma_f64 v[13:14], v[13:14], s[10:11], -v[15:16]
	v_add_f64 v[85:86], v[3:4], v[85:86]
	v_add_f64 v[87:88], v[1:2], v[87:88]
	v_add_f64 v[105:106], v[3:4], v[21:22]
	v_add_f64 v[107:108], v[1:2], v[23:24]
	v_add_f64 v[68:69], v[3:4], v[9:10]
	v_add_f64 v[66:67], v[1:2], v[11:12]
	v_add_f64 v[23:24], v[3:4], v[17:18]
	v_add_f64 v[21:22], v[1:2], v[19:20]
	v_add_f64 v[11:12], v[3:4], v[101:102]
	v_add_f64 v[15:16], v[3:4], v[73:74]
	v_add_f64 v[9:10], v[1:2], v[75:76]
	v_add_f64 v[13:14], v[1:2], v[13:14]
	v_fma_f64 v[1:2], v[62:63], s[20:21], v[103:104]
	v_mul_f64 v[73:74], v[27:28], s[14:15]
	v_mul_f64 v[75:76], v[60:61], s[24:25]
	;; [unrolled: 1-line block ×3, first 2 shown]
	v_fma_f64 v[103:104], v[62:63], s[14:15], v[103:104]
	v_mul_f64 v[19:20], v[43:44], s[48:49]
	v_add_f64 v[1:2], v[1:2], v[85:86]
	v_fma_f64 v[3:4], v[25:26], s[10:11], v[73:74]
	v_fma_f64 v[17:18], v[58:59], s[28:29], v[75:76]
	v_mul_f64 v[85:86], v[31:32], s[30:31]
	v_add_f64 v[103:104], v[103:104], v[105:106]
	v_fma_f64 v[73:74], v[25:26], s[10:11], -v[73:74]
	v_mul_f64 v[105:106], v[64:65], s[46:47]
	v_fma_f64 v[75:76], v[58:59], s[30:31], v[75:76]
	v_add_f64 v[3:4], v[3:4], v[87:88]
	v_add_f64 v[1:2], v[17:18], v[1:2]
	v_fma_f64 v[17:18], v[29:30], s[24:25], v[85:86]
	v_mul_f64 v[87:88], v[51:52], s[34:35]
	v_add_f64 v[73:74], v[73:74], v[107:108]
	v_fma_f64 v[107:108], v[62:63], s[50:51], v[105:106]
	v_fma_f64 v[105:106], v[62:63], s[48:49], v[105:106]
	v_fma_f64 v[85:86], v[29:30], s[24:25], -v[85:86]
	v_add_f64 v[75:76], v[75:76], v[103:104]
	v_add_f64 v[3:4], v[17:18], v[3:4]
	v_fma_f64 v[17:18], v[49:50], s[38:39], v[87:88]
	v_fma_f64 v[87:88], v[49:50], s[36:37], v[87:88]
	v_add_f64 v[89:90], v[107:108], v[89:90]
	v_mul_f64 v[107:108], v[27:28], s[48:49]
	v_add_f64 v[105:106], v[105:106], v[109:110]
	v_mul_f64 v[109:110], v[64:65], s[24:25]
	;; [unrolled: 2-line block ×3, first 2 shown]
	v_add_f64 v[1:2], v[17:18], v[1:2]
	v_fma_f64 v[17:18], v[33:34], s[34:35], v[101:102]
	v_add_f64 v[75:76], v[87:88], v[75:76]
	v_fma_f64 v[87:88], v[33:34], s[34:35], -v[101:102]
	v_fma_f64 v[103:104], v[58:59], s[36:37], v[85:86]
	v_fma_f64 v[85:86], v[58:59], s[38:39], v[85:86]
	v_add_f64 v[3:4], v[17:18], v[3:4]
	v_fma_f64 v[17:18], v[45:46], s[44:45], v[113:114]
	v_add_f64 v[73:74], v[87:88], v[73:74]
	v_mul_f64 v[87:88], v[51:52], s[0:1]
	v_add_f64 v[89:90], v[103:104], v[89:90]
	v_mul_f64 v[103:104], v[31:32], s[38:39]
	;; [unrolled: 2-line block ×3, first 2 shown]
	v_add_f64 v[1:2], v[17:18], v[1:2]
	v_fma_f64 v[17:18], v[37:38], s[40:41], v[115:116]
	v_fma_f64 v[101:102], v[49:50], s[26:27], v[87:88]
	;; [unrolled: 1-line block ×3, first 2 shown]
	v_add_f64 v[117:118], v[17:18], v[3:4]
	v_mul_f64 v[17:18], v[56:57], s[46:47]
	v_add_f64 v[89:90], v[101:102], v[89:90]
	v_mul_f64 v[101:102], v[35:36], s[12:13]
	v_add_f64 v[85:86], v[87:88], v[85:86]
	v_fma_f64 v[3:4], v[54:55], s[50:51], v[17:18]
	v_fma_f64 v[17:18], v[54:55], s[48:49], v[17:18]
	v_fma_f64 v[87:88], v[33:34], s[0:1], -v[101:102]
	v_add_f64 v[3:4], v[3:4], v[1:2]
	v_fma_f64 v[1:2], v[41:42], s[46:47], v[19:20]
	v_fma_f64 v[19:20], v[41:42], s[46:47], -v[19:20]
	v_add_f64 v[1:2], v[1:2], v[117:118]
	;; [unrolled: 3-line block ×3, first 2 shown]
	v_add_f64 v[107:108], v[107:108], v[111:112]
	v_fma_f64 v[111:112], v[62:63], s[30:31], v[109:110]
	v_fma_f64 v[109:110], v[62:63], s[28:29], v[109:110]
	v_add_f64 v[93:94], v[111:112], v[93:94]
	v_mul_f64 v[111:112], v[27:28], s[28:29]
	v_add_f64 v[77:78], v[109:110], v[77:78]
	v_fma_f64 v[117:118], v[25:26], s[24:25], v[111:112]
	v_add_f64 v[95:96], v[117:118], v[95:96]
	v_fma_f64 v[117:118], v[29:30], s[34:35], v[103:104]
	v_fma_f64 v[103:104], v[29:30], s[34:35], -v[103:104]
	v_add_f64 v[91:92], v[117:118], v[91:92]
	v_add_f64 v[103:104], v[103:104], v[107:108]
	v_fma_f64 v[107:108], v[58:59], s[20:21], v[105:106]
	v_fma_f64 v[105:106], v[58:59], s[14:15], v[105:106]
	v_add_f64 v[87:88], v[87:88], v[103:104]
	v_add_f64 v[93:94], v[107:108], v[93:94]
	v_mul_f64 v[107:108], v[31:32], s[14:15]
	v_add_f64 v[77:78], v[105:106], v[77:78]
	v_fma_f64 v[117:118], v[29:30], s[10:11], v[107:108]
	v_add_f64 v[95:96], v[117:118], v[95:96]
	v_fma_f64 v[117:118], v[33:34], s[0:1], v[101:102]
	v_fma_f64 v[101:102], v[45:46], s[42:43], v[113:114]
	v_add_f64 v[91:92], v[117:118], v[91:92]
	v_add_f64 v[75:76], v[101:102], v[75:76]
	v_fma_f64 v[101:102], v[37:38], s[40:41], -v[115:116]
	v_add_f64 v[73:74], v[101:102], v[73:74]
	v_mul_f64 v[101:102], v[47:48], s[10:11]
	v_fma_f64 v[103:104], v[45:46], s[20:21], v[101:102]
	v_fma_f64 v[101:102], v[45:46], s[14:15], v[101:102]
	v_add_f64 v[89:90], v[103:104], v[89:90]
	v_mul_f64 v[103:104], v[39:40], s[14:15]
	v_add_f64 v[85:86], v[101:102], v[85:86]
	v_fma_f64 v[101:102], v[37:38], s[10:11], -v[103:104]
	v_fma_f64 v[113:114], v[37:38], s[10:11], v[103:104]
	v_add_f64 v[87:88], v[101:102], v[87:88]
	v_mul_f64 v[101:102], v[51:52], s[46:47]
	v_add_f64 v[91:92], v[113:114], v[91:92]
	v_fma_f64 v[103:104], v[49:50], s[48:49], v[101:102]
	v_fma_f64 v[101:102], v[49:50], s[50:51], v[101:102]
	v_add_f64 v[93:94], v[103:104], v[93:94]
	v_mul_f64 v[103:104], v[35:36], s[50:51]
	v_add_f64 v[77:78], v[101:102], v[77:78]
	v_fma_f64 v[113:114], v[33:34], s[46:47], v[103:104]
	v_add_f64 v[95:96], v[113:114], v[95:96]
	v_mul_f64 v[113:114], v[47:48], s[0:1]
	v_fma_f64 v[101:102], v[45:46], s[12:13], v[113:114]
	v_fma_f64 v[115:116], v[45:46], s[26:27], v[113:114]
	v_add_f64 v[77:78], v[101:102], v[77:78]
	v_fma_f64 v[101:102], v[25:26], s[24:25], -v[111:112]
	v_add_f64 v[93:94], v[115:116], v[93:94]
	v_mul_f64 v[115:116], v[39:40], s[12:13]
	v_add_f64 v[79:80], v[101:102], v[79:80]
	v_fma_f64 v[101:102], v[29:30], s[10:11], -v[107:108]
	v_fma_f64 v[117:118], v[37:38], s[0:1], v[115:116]
	v_add_f64 v[79:80], v[101:102], v[79:80]
	v_fma_f64 v[101:102], v[33:34], s[46:47], -v[103:104]
	v_add_f64 v[95:96], v[117:118], v[95:96]
	v_add_f64 v[79:80], v[101:102], v[79:80]
	v_fma_f64 v[101:102], v[37:38], s[0:1], -v[115:116]
	v_add_f64 v[79:80], v[101:102], v[79:80]
	v_mul_f64 v[101:102], v[64:65], s[0:1]
	v_fma_f64 v[103:104], v[62:63], s[12:13], v[101:102]
	v_fma_f64 v[101:102], v[62:63], s[26:27], v[101:102]
	v_add_f64 v[97:98], v[103:104], v[97:98]
	v_mul_f64 v[103:104], v[60:61], s[40:41]
	v_add_f64 v[81:82], v[101:102], v[81:82]
	v_fma_f64 v[105:106], v[58:59], s[42:43], v[103:104]
	v_fma_f64 v[101:102], v[58:59], s[44:45], v[103:104]
	v_add_f64 v[97:98], v[105:106], v[97:98]
	v_mul_f64 v[105:106], v[51:52], s[10:11]
	v_add_f64 v[81:82], v[101:102], v[81:82]
	;; [unrolled: 5-line block ×4, first 2 shown]
	v_fma_f64 v[111:112], v[25:26], s[0:1], v[109:110]
	v_fma_f64 v[101:102], v[25:26], s[0:1], -v[109:110]
	v_add_f64 v[99:100], v[111:112], v[99:100]
	v_mul_f64 v[111:112], v[31:32], s[44:45]
	v_add_f64 v[83:84], v[101:102], v[83:84]
	v_fma_f64 v[113:114], v[29:30], s[40:41], v[111:112]
	v_fma_f64 v[101:102], v[29:30], s[40:41], -v[111:112]
	v_add_f64 v[99:100], v[113:114], v[99:100]
	v_mul_f64 v[113:114], v[35:36], s[14:15]
	v_add_f64 v[83:84], v[101:102], v[83:84]
	;; [unrolled: 5-line block ×3, first 2 shown]
	v_fma_f64 v[101:102], v[37:38], s[34:35], -v[115:116]
	v_fma_f64 v[117:118], v[37:38], s[34:35], v[115:116]
	v_add_f64 v[83:84], v[101:102], v[83:84]
	v_mul_f64 v[101:102], v[64:65], s[40:41]
	v_mul_f64 v[64:65], v[64:65], s[34:35]
	v_add_f64 v[99:100], v[117:118], v[99:100]
	v_fma_f64 v[103:104], v[62:63], s[44:45], v[101:102]
	v_fma_f64 v[101:102], v[62:63], s[42:43], v[101:102]
	v_add_f64 v[68:69], v[103:104], v[68:69]
	v_mul_f64 v[103:104], v[60:61], s[0:1]
	v_add_f64 v[23:24], v[101:102], v[23:24]
	v_mul_f64 v[60:61], v[60:61], s[46:47]
	v_fma_f64 v[105:106], v[58:59], s[12:13], v[103:104]
	v_fma_f64 v[101:102], v[58:59], s[26:27], v[103:104]
	v_add_f64 v[68:69], v[105:106], v[68:69]
	v_mul_f64 v[105:106], v[51:52], s[24:25]
	v_add_f64 v[23:24], v[101:102], v[23:24]
	v_mul_f64 v[51:52], v[51:52], s[40:41]
	;; [unrolled: 6-line block ×3, first 2 shown]
	v_fma_f64 v[109:110], v[25:26], s[40:41], v[107:108]
	v_fma_f64 v[101:102], v[25:26], s[40:41], -v[107:108]
	v_add_f64 v[66:67], v[109:110], v[66:67]
	v_mul_f64 v[109:110], v[31:32], s[26:27]
	v_add_f64 v[21:22], v[101:102], v[21:22]
	v_mul_f64 v[31:32], v[31:32], s[50:51]
	v_fma_f64 v[111:112], v[29:30], s[0:1], v[109:110]
	v_fma_f64 v[101:102], v[29:30], s[0:1], -v[109:110]
	v_add_f64 v[66:67], v[111:112], v[66:67]
	v_mul_f64 v[111:112], v[35:36], s[28:29]
	v_add_f64 v[21:22], v[101:102], v[21:22]
	v_fma_f64 v[101:102], v[62:63], s[38:39], v[64:65]
	v_fma_f64 v[62:63], v[62:63], s[36:37], v[64:65]
	v_fma_f64 v[64:65], v[25:26], s[34:35], -v[27:28]
	v_fma_f64 v[25:26], v[25:26], s[34:35], v[27:28]
	v_mul_f64 v[27:28], v[47:48], s[46:47]
	v_mul_f64 v[35:36], v[35:36], s[42:43]
	;; [unrolled: 1-line block ×3, first 2 shown]
	v_fma_f64 v[113:114], v[33:34], s[24:25], v[111:112]
	v_add_f64 v[15:16], v[101:102], v[15:16]
	v_add_f64 v[11:12], v[62:63], v[11:12]
	;; [unrolled: 1-line block ×3, first 2 shown]
	v_fma_f64 v[64:65], v[58:59], s[50:51], v[60:61]
	v_fma_f64 v[58:59], v[58:59], s[48:49], v[60:61]
	v_mul_f64 v[60:61], v[39:40], s[48:49]
	v_fma_f64 v[62:63], v[29:30], s[46:47], -v[31:32]
	v_fma_f64 v[29:30], v[29:30], s[46:47], v[31:32]
	v_add_f64 v[9:10], v[25:26], v[9:10]
	v_fma_f64 v[101:102], v[33:34], s[24:25], -v[111:112]
	v_mul_f64 v[39:40], v[39:40], s[30:31]
	v_mul_f64 v[31:32], v[56:57], s[40:41]
	v_add_f64 v[66:67], v[113:114], v[66:67]
	v_add_f64 v[15:16], v[64:65], v[15:16]
	v_fma_f64 v[64:65], v[45:46], s[50:51], v[27:28]
	v_fma_f64 v[25:26], v[37:38], s[46:47], v[60:61]
	;; [unrolled: 1-line block ×3, first 2 shown]
	v_add_f64 v[13:14], v[62:63], v[13:14]
	v_fma_f64 v[62:63], v[49:50], s[42:43], v[51:52]
	v_fma_f64 v[49:50], v[49:50], s[44:45], v[51:52]
	v_fma_f64 v[51:52], v[33:34], s[40:41], -v[35:36]
	v_add_f64 v[11:12], v[58:59], v[11:12]
	v_fma_f64 v[33:34], v[33:34], s[40:41], v[35:36]
	v_add_f64 v[9:10], v[29:30], v[9:10]
	v_mul_f64 v[58:59], v[43:44], s[42:43]
	v_add_f64 v[21:22], v[101:102], v[21:22]
	v_fma_f64 v[60:61], v[37:38], s[46:47], -v[60:61]
	v_mul_f64 v[101:102], v[56:57], s[34:35]
	v_mul_f64 v[35:36], v[56:57], s[24:25]
	v_mul_f64 v[29:30], v[56:57], s[10:11]
	v_add_f64 v[64:65], v[64:65], v[68:69]
	v_add_f64 v[66:67], v[25:26], v[66:67]
	v_mul_f64 v[25:26], v[43:44], s[36:37]
	v_add_f64 v[103:104], v[27:28], v[23:24]
	v_add_f64 v[15:16], v[62:63], v[15:16]
	v_fma_f64 v[62:63], v[45:46], s[30:31], v[47:48]
	v_add_f64 v[13:14], v[51:52], v[13:14]
	v_fma_f64 v[23:24], v[37:38], s[24:25], -v[39:40]
	v_mul_f64 v[27:28], v[56:57], s[0:1]
	v_mul_f64 v[51:52], v[43:44], s[30:31]
	v_add_f64 v[11:12], v[49:50], v[11:12]
	v_mul_f64 v[49:50], v[43:44], s[14:15]
	v_mul_f64 v[43:44], v[43:44], s[26:27]
	v_fma_f64 v[45:46], v[45:46], s[28:29], v[47:48]
	v_fma_f64 v[37:38], v[37:38], s[24:25], v[39:40]
	v_add_f64 v[9:10], v[33:34], v[9:10]
	v_fma_f64 v[47:48], v[41:42], s[40:41], v[58:59]
	v_fma_f64 v[56:57], v[41:42], s[40:41], -v[58:59]
	v_add_f64 v[58:59], v[60:61], v[21:22]
	v_fma_f64 v[21:22], v[54:55], s[38:39], v[101:102]
	v_fma_f64 v[68:69], v[54:55], s[44:45], v[31:32]
	;; [unrolled: 1-line block ×8, first 2 shown]
	v_add_f64 v[62:63], v[62:63], v[15:16]
	v_fma_f64 v[25:26], v[41:42], s[34:35], -v[25:26]
	v_add_f64 v[107:108], v[23:24], v[13:14]
	v_fma_f64 v[109:110], v[54:55], s[26:27], v[27:28]
	v_fma_f64 v[111:112], v[41:42], s[24:25], v[51:52]
	v_fma_f64 v[51:52], v[41:42], s[24:25], -v[51:52]
	v_fma_f64 v[101:102], v[54:55], s[28:29], v[35:36]
	v_fma_f64 v[115:116], v[41:42], s[0:1], -v[43:44]
	v_add_f64 v[113:114], v[45:46], v[11:12]
	v_fma_f64 v[45:46], v[41:42], s[10:11], v[49:50]
	v_fma_f64 v[49:50], v[41:42], s[10:11], -v[49:50]
	v_fma_f64 v[54:55], v[54:55], s[12:13], v[27:28]
	v_fma_f64 v[117:118], v[41:42], s[0:1], v[43:44]
	v_add_f64 v[119:120], v[37:38], v[9:10]
	v_add_f64 v[23:24], v[21:22], v[93:94]
	;; [unrolled: 1-line block ×23, first 2 shown]
	v_mul_u32_u24_e32 v54, 0xd00, v72
	v_lshlrev_b32_e32 v55, 4, v71
	v_add3_u32 v54, 0, v54, v55
	ds_write_b128 v54, v[5:8]
	ds_write_b128 v54, v[37:40] offset:256
	ds_write_b128 v54, v[33:36] offset:512
	;; [unrolled: 1-line block ×12, first 2 shown]
.LBB0_15:
	s_or_b32 exec_lo, exec_lo, s5
	s_waitcnt vmcnt(12)
	v_mul_hi_u32 v1, 0x13b13b14, v72
	s_waitcnt vmcnt(0) lgkmcnt(0)
	s_barrier
	buffer_gl0_inv
	v_lshlrev_b32_e32 v13, 8, v72
	v_lshlrev_b32_e32 v14, 4, v71
	v_mul_lo_u32 v29, v53, 13
	s_add_i32 s0, 0, 0x3400
	v_mul_u32_u24_e32 v1, 13, v1
	s_or_b32 vcc_lo, s3, vcc_lo
	v_add3_u32 v25, 0, v13, v14
	s_mov_b32 s5, s23
	v_sub_nc_u32_e32 v69, v72, v1
	v_mul_u32_u24_e32 v1, 3, v69
	v_mul_lo_u32 v61, v69, v53
	v_lshlrev_b32_e32 v9, 4, v1
	s_clause 0x2
	global_load_dwordx4 v[1:4], v9, s[8:9]
	global_load_dwordx4 v[5:8], v9, s[8:9] offset:16
	global_load_dwordx4 v[9:12], v9, s[8:9] offset:32
	ds_read_b128 v[13:16], v25 offset:3328
	ds_read_b128 v[17:20], v25 offset:6656
	;; [unrolled: 1-line block ×3, first 2 shown]
	v_add_nc_u32_e32 v32, v61, v29
	v_lshrrev_b32_e32 v31, 2, v61
	v_and_b32_e32 v30, 63, v61
	ds_read_b128 v[25:28], v25
	v_add_nc_u32_e32 v62, v32, v29
	v_lshrrev_b32_e32 v34, 2, v32
	v_and_b32_e32 v31, 0x3f0, v31
	v_and_b32_e32 v33, 63, v32
	v_lshl_add_u32 v30, v30, 4, 0
	v_add_nc_u32_e32 v44, v62, v29
	v_lshrrev_b32_e32 v43, 2, v62
	v_and_b32_e32 v41, 0x3f0, v34
	v_and_b32_e32 v42, 63, v62
	v_add_nc_u32_e32 v35, s0, v31
	v_lshrrev_b32_e32 v45, 2, v44
	v_and_b32_e32 v46, 63, v44
	v_and_b32_e32 v47, 0x3f0, v43
	v_add_nc_u32_e32 v41, s0, v41
	v_lshl_add_u32 v37, v33, 4, 0
	v_and_b32_e32 v45, 0x3f0, v45
	v_lshl_add_u32 v64, v42, 4, 0
	v_lshl_add_u32 v46, v46, 4, 0
	v_add_nc_u32_e32 v66, s0, v47
	v_lshrrev_b32_e32 v63, 8, v32
	v_add_nc_u32_e32 v49, s0, v45
	ds_read_b128 v[29:32], v30 offset:13312
	ds_read_b128 v[33:36], v35 offset:1024
	;; [unrolled: 1-line block ×3, first 2 shown]
	v_lshrrev_b32_e32 v65, 8, v44
	ds_read_b128 v[41:44], v41 offset:1024
	ds_read_b128 v[45:48], v46 offset:13312
	;; [unrolled: 1-line block ×3, first 2 shown]
	v_lshrrev_b32_e32 v74, 8, v62
	s_waitcnt vmcnt(2) lgkmcnt(9)
	v_mul_f64 v[53:54], v[15:16], v[3:4]
	v_mul_f64 v[3:4], v[13:14], v[3:4]
	s_waitcnt vmcnt(1) lgkmcnt(8)
	v_mul_f64 v[55:56], v[19:20], v[7:8]
	v_mul_f64 v[7:8], v[17:18], v[7:8]
	;; [unrolled: 3-line block ×3, first 2 shown]
	v_fma_f64 v[53:54], v[13:14], v[1:2], -v[53:54]
	v_fma_f64 v[59:60], v[15:16], v[1:2], v[3:4]
	v_fma_f64 v[17:18], v[17:18], v[5:6], -v[55:56]
	v_fma_f64 v[19:20], v[19:20], v[5:6], v[7:8]
	v_fma_f64 v[23:24], v[23:24], v[9:10], v[57:58]
	v_fma_f64 v[21:22], v[21:22], v[9:10], -v[11:12]
	ds_read_b128 v[1:4], v64 offset:13312
	ds_read_b128 v[5:8], v66 offset:1024
	v_and_b32_e32 v9, 0x3f0, v63
	v_and_b32_e32 v10, 0x3f0, v65
	s_waitcnt lgkmcnt(6)
	v_mul_f64 v[55:56], v[31:32], v[35:36]
	s_waitcnt lgkmcnt(4)
	v_mul_f64 v[57:58], v[39:40], v[43:44]
	v_lshrrev_b32_e32 v11, 8, v61
	s_waitcnt lgkmcnt(2)
	v_mul_f64 v[61:62], v[47:48], v[51:52]
	v_add_nc_u32_e32 v9, s0, v9
	v_add_nc_u32_e32 v13, s0, v10
	v_mul_f64 v[35:36], v[29:30], v[35:36]
	v_and_b32_e32 v75, 0x3f0, v11
	v_mul_f64 v[43:44], v[37:38], v[43:44]
	v_mul_f64 v[51:52], v[45:46], v[51:52]
	ds_read_b128 v[9:12], v9 offset:2048
	ds_read_b128 v[13:16], v13 offset:2048
	v_add_f64 v[63:64], v[25:26], -v[17:18]
	v_add_f64 v[65:66], v[27:28], -v[19:20]
	;; [unrolled: 1-line block ×4, first 2 shown]
	s_waitcnt lgkmcnt(2)
	v_mul_f64 v[21:22], v[3:4], v[7:8]
	v_and_b32_e32 v23, 0x3f0, v74
	v_add_nc_u32_e32 v17, s0, v75
	v_mul_f64 v[7:8], v[1:2], v[7:8]
	v_fma_f64 v[29:30], v[29:30], v[33:34], -v[55:56]
	v_fma_f64 v[37:38], v[37:38], v[41:42], -v[57:58]
	v_add_nc_u32_e32 v23, s0, v23
	ds_read_b128 v[17:20], v17 offset:2048
	v_fma_f64 v[45:46], v[45:46], v[49:50], -v[61:62]
	v_fma_f64 v[31:32], v[31:32], v[33:34], v[35:36]
	s_mul_i32 s0, s4, s2
	v_fma_f64 v[33:34], v[39:40], v[41:42], v[43:44]
	s_mov_b32 s4, s22
	v_fma_f64 v[25:26], v[25:26], 2.0, -v[63:64]
	v_fma_f64 v[27:28], v[27:28], 2.0, -v[65:66]
	;; [unrolled: 1-line block ×4, first 2 shown]
	v_fma_f64 v[1:2], v[1:2], v[5:6], -v[21:22]
	ds_read_b128 v[21:24], v23 offset:2048
	v_add_f64 v[41:42], v[65:66], v[72:73]
	v_fma_f64 v[3:4], v[3:4], v[5:6], v[7:8]
	v_fma_f64 v[5:6], v[47:48], v[49:50], v[51:52]
	s_waitcnt lgkmcnt(1)
	v_mul_f64 v[7:8], v[29:30], v[19:20]
	v_mul_f64 v[35:36], v[37:38], v[11:12]
	v_add_f64 v[43:44], v[63:64], -v[67:68]
	v_mul_f64 v[39:40], v[45:46], v[15:16]
	v_mul_f64 v[19:20], v[31:32], v[19:20]
	;; [unrolled: 1-line block ×3, first 2 shown]
	v_add_f64 v[47:48], v[27:28], -v[55:56]
	v_add_f64 v[49:50], v[25:26], -v[53:54]
	s_waitcnt lgkmcnt(0)
	v_mul_f64 v[51:52], v[1:2], v[23:24]
	v_mul_f64 v[23:24], v[3:4], v[23:24]
	;; [unrolled: 1-line block ×3, first 2 shown]
	v_fma_f64 v[7:8], v[17:18], v[31:32], v[7:8]
	v_fma_f64 v[31:32], v[9:10], v[33:34], v[35:36]
	v_fma_f64 v[33:34], v[65:66], 2.0, -v[41:42]
	v_fma_f64 v[35:36], v[63:64], 2.0, -v[43:44]
	v_fma_f64 v[5:6], v[13:14], v[5:6], v[39:40]
	v_fma_f64 v[17:18], v[17:18], v[29:30], -v[19:20]
	v_fma_f64 v[9:10], v[9:10], v[37:38], -v[11:12]
	v_mul_hi_u32 v39, 0x13b13b2, v0
	v_mul_lo_u32 v37, s18, v71
	v_fma_f64 v[27:28], v[27:28], 2.0, -v[47:48]
	v_fma_f64 v[25:26], v[25:26], 2.0, -v[49:50]
	v_fma_f64 v[3:4], v[21:22], v[3:4], v[51:52]
	v_fma_f64 v[19:20], v[21:22], v[1:2], -v[23:24]
	v_fma_f64 v[21:22], v[13:14], v[45:46], -v[15:16]
	v_mul_f64 v[11:12], v[33:34], v[31:32]
	v_mul_f64 v[13:14], v[35:36], v[31:32]
	;; [unrolled: 1-line block ×4, first 2 shown]
	v_mad_u32_u24 v5, v39, 52, v69
	v_mul_lo_u32 v39, s16, v5
	v_add_nc_u32_e32 v40, 13, v5
	v_add_nc_u32_e32 v45, 26, v5
	;; [unrolled: 1-line block ×3, first 2 shown]
	v_mul_f64 v[15:16], v[27:28], v[7:8]
	v_mul_f64 v[23:24], v[25:26], v[7:8]
	;; [unrolled: 1-line block ×4, first 2 shown]
	v_add_nc_u32_e32 v4, s0, v70
	v_lshlrev_b32_e32 v38, 4, v4
	v_fma_f64 v[4:5], v[35:36], v[9:10], -v[11:12]
	v_fma_f64 v[6:7], v[33:34], v[9:10], v[13:14]
	v_fma_f64 v[0:1], v[43:44], v[21:22], -v[0:1]
	v_readfirstlane_b32 s0, v38
	v_fma_f64 v[8:9], v[25:26], v[17:18], -v[15:16]
	v_fma_f64 v[10:11], v[27:28], v[17:18], v[23:24]
	v_fma_f64 v[12:13], v[49:50], v[19:20], -v[29:30]
	v_fma_f64 v[14:15], v[47:48], v[19:20], v[2:3]
	v_fma_f64 v[2:3], v[41:42], v[21:22], v[31:32]
	v_mul_lo_u32 v16, s16, v40
	v_mul_lo_u32 v17, s16, v45
	;; [unrolled: 1-line block ×3, first 2 shown]
	v_add_lshl_u32 v19, v37, v39, 4
	v_add_lshl_u32 v16, v37, v16, 4
	;; [unrolled: 1-line block ×4, first 2 shown]
	v_cndmask_b32_e32 v19, -1, v19, vcc_lo
	v_cndmask_b32_e32 v16, -1, v16, vcc_lo
	;; [unrolled: 1-line block ×4, first 2 shown]
	buffer_store_dwordx4 v[8:11], v19, s[4:7], s0 offen
	buffer_store_dwordx4 v[4:7], v16, s[4:7], s0 offen
	;; [unrolled: 1-line block ×4, first 2 shown]
	s_endpgm
	.section	.rodata,"a",@progbits
	.p2align	6, 0x0
	.amdhsa_kernel fft_rtc_fwd_len52_factors_13_4_wgs_208_tpt_13_dp_op_CI_CI_sbcc_twdbase6_3step_dirReg_intrinsicReadWrite
		.amdhsa_group_segment_fixed_size 0
		.amdhsa_private_segment_fixed_size 0
		.amdhsa_kernarg_size 112
		.amdhsa_user_sgpr_count 6
		.amdhsa_user_sgpr_private_segment_buffer 1
		.amdhsa_user_sgpr_dispatch_ptr 0
		.amdhsa_user_sgpr_queue_ptr 0
		.amdhsa_user_sgpr_kernarg_segment_ptr 1
		.amdhsa_user_sgpr_dispatch_id 0
		.amdhsa_user_sgpr_flat_scratch_init 0
		.amdhsa_user_sgpr_private_segment_size 0
		.amdhsa_wavefront_size32 1
		.amdhsa_uses_dynamic_stack 0
		.amdhsa_system_sgpr_private_segment_wavefront_offset 0
		.amdhsa_system_sgpr_workgroup_id_x 1
		.amdhsa_system_sgpr_workgroup_id_y 0
		.amdhsa_system_sgpr_workgroup_id_z 0
		.amdhsa_system_sgpr_workgroup_info 0
		.amdhsa_system_vgpr_workitem_id 0
		.amdhsa_next_free_vgpr 121
		.amdhsa_next_free_sgpr 52
		.amdhsa_reserve_vcc 1
		.amdhsa_reserve_flat_scratch 0
		.amdhsa_float_round_mode_32 0
		.amdhsa_float_round_mode_16_64 0
		.amdhsa_float_denorm_mode_32 3
		.amdhsa_float_denorm_mode_16_64 3
		.amdhsa_dx10_clamp 1
		.amdhsa_ieee_mode 1
		.amdhsa_fp16_overflow 0
		.amdhsa_workgroup_processor_mode 1
		.amdhsa_memory_ordered 1
		.amdhsa_forward_progress 0
		.amdhsa_shared_vgpr_count 0
		.amdhsa_exception_fp_ieee_invalid_op 0
		.amdhsa_exception_fp_denorm_src 0
		.amdhsa_exception_fp_ieee_div_zero 0
		.amdhsa_exception_fp_ieee_overflow 0
		.amdhsa_exception_fp_ieee_underflow 0
		.amdhsa_exception_fp_ieee_inexact 0
		.amdhsa_exception_int_div_zero 0
	.end_amdhsa_kernel
	.text
.Lfunc_end0:
	.size	fft_rtc_fwd_len52_factors_13_4_wgs_208_tpt_13_dp_op_CI_CI_sbcc_twdbase6_3step_dirReg_intrinsicReadWrite, .Lfunc_end0-fft_rtc_fwd_len52_factors_13_4_wgs_208_tpt_13_dp_op_CI_CI_sbcc_twdbase6_3step_dirReg_intrinsicReadWrite
                                        ; -- End function
	.section	.AMDGPU.csdata,"",@progbits
; Kernel info:
; codeLenInByte = 6944
; NumSgprs: 54
; NumVgprs: 121
; ScratchSize: 0
; MemoryBound: 0
; FloatMode: 240
; IeeeMode: 1
; LDSByteSize: 0 bytes/workgroup (compile time only)
; SGPRBlocks: 6
; VGPRBlocks: 15
; NumSGPRsForWavesPerEU: 54
; NumVGPRsForWavesPerEU: 121
; Occupancy: 8
; WaveLimiterHint : 0
; COMPUTE_PGM_RSRC2:SCRATCH_EN: 0
; COMPUTE_PGM_RSRC2:USER_SGPR: 6
; COMPUTE_PGM_RSRC2:TRAP_HANDLER: 0
; COMPUTE_PGM_RSRC2:TGID_X_EN: 1
; COMPUTE_PGM_RSRC2:TGID_Y_EN: 0
; COMPUTE_PGM_RSRC2:TGID_Z_EN: 0
; COMPUTE_PGM_RSRC2:TIDIG_COMP_CNT: 0
	.text
	.p2alignl 6, 3214868480
	.fill 48, 4, 3214868480
	.type	__hip_cuid_9bccd868f8174e1b,@object ; @__hip_cuid_9bccd868f8174e1b
	.section	.bss,"aw",@nobits
	.globl	__hip_cuid_9bccd868f8174e1b
__hip_cuid_9bccd868f8174e1b:
	.byte	0                               ; 0x0
	.size	__hip_cuid_9bccd868f8174e1b, 1

	.ident	"AMD clang version 19.0.0git (https://github.com/RadeonOpenCompute/llvm-project roc-6.4.0 25133 c7fe45cf4b819c5991fe208aaa96edf142730f1d)"
	.section	".note.GNU-stack","",@progbits
	.addrsig
	.addrsig_sym __hip_cuid_9bccd868f8174e1b
	.amdgpu_metadata
---
amdhsa.kernels:
  - .args:
      - .actual_access:  read_only
        .address_space:  global
        .offset:         0
        .size:           8
        .value_kind:     global_buffer
      - .address_space:  global
        .offset:         8
        .size:           8
        .value_kind:     global_buffer
      - .offset:         16
        .size:           8
        .value_kind:     by_value
      - .actual_access:  read_only
        .address_space:  global
        .offset:         24
        .size:           8
        .value_kind:     global_buffer
      - .actual_access:  read_only
        .address_space:  global
        .offset:         32
        .size:           8
        .value_kind:     global_buffer
      - .actual_access:  read_only
        .address_space:  global
        .offset:         40
        .size:           8
        .value_kind:     global_buffer
      - .offset:         48
        .size:           8
        .value_kind:     by_value
      - .actual_access:  read_only
        .address_space:  global
        .offset:         56
        .size:           8
        .value_kind:     global_buffer
      - .actual_access:  read_only
        .address_space:  global
        .offset:         64
        .size:           8
        .value_kind:     global_buffer
      - .offset:         72
        .size:           4
        .value_kind:     by_value
      - .actual_access:  read_only
        .address_space:  global
        .offset:         80
        .size:           8
        .value_kind:     global_buffer
      - .actual_access:  read_only
        .address_space:  global
        .offset:         88
        .size:           8
        .value_kind:     global_buffer
      - .address_space:  global
        .offset:         96
        .size:           8
        .value_kind:     global_buffer
      - .address_space:  global
        .offset:         104
        .size:           8
        .value_kind:     global_buffer
    .group_segment_fixed_size: 0
    .kernarg_segment_align: 8
    .kernarg_segment_size: 112
    .language:       OpenCL C
    .language_version:
      - 2
      - 0
    .max_flat_workgroup_size: 208
    .name:           fft_rtc_fwd_len52_factors_13_4_wgs_208_tpt_13_dp_op_CI_CI_sbcc_twdbase6_3step_dirReg_intrinsicReadWrite
    .private_segment_fixed_size: 0
    .sgpr_count:     54
    .sgpr_spill_count: 0
    .symbol:         fft_rtc_fwd_len52_factors_13_4_wgs_208_tpt_13_dp_op_CI_CI_sbcc_twdbase6_3step_dirReg_intrinsicReadWrite.kd
    .uniform_work_group_size: 1
    .uses_dynamic_stack: false
    .vgpr_count:     121
    .vgpr_spill_count: 0
    .wavefront_size: 32
    .workgroup_processor_mode: 1
amdhsa.target:   amdgcn-amd-amdhsa--gfx1030
amdhsa.version:
  - 1
  - 2
...

	.end_amdgpu_metadata
